;; amdgpu-corpus repo=ROCm/rocFFT kind=compiled arch=gfx1100 opt=O3
	.text
	.amdgcn_target "amdgcn-amd-amdhsa--gfx1100"
	.amdhsa_code_object_version 6
	.protected	bluestein_single_back_len128_dim1_sp_op_CI_CI ; -- Begin function bluestein_single_back_len128_dim1_sp_op_CI_CI
	.globl	bluestein_single_back_len128_dim1_sp_op_CI_CI
	.p2align	8
	.type	bluestein_single_back_len128_dim1_sp_op_CI_CI,@function
bluestein_single_back_len128_dim1_sp_op_CI_CI: ; @bluestein_single_back_len128_dim1_sp_op_CI_CI
; %bb.0:
	s_load_b128 s[8:11], s[0:1], 0x28
	v_lshrrev_b32_e32 v1, 4, v0
	v_mov_b32_e32 v45, 0
	s_mov_b32 s2, exec_lo
	s_delay_alu instid0(VALU_DEP_2) | instskip(SKIP_1) | instid1(VALU_DEP_1)
	v_lshl_or_b32 v44, s15, 4, v1
	s_waitcnt lgkmcnt(0)
	v_cmpx_gt_u64_e64 s[8:9], v[44:45]
	s_cbranch_execz .LBB0_15
; %bb.1:
	s_clause 0x1
	s_load_b64 s[12:13], s[0:1], 0x0
	s_load_b64 s[8:9], s[0:1], 0x38
	v_and_b32_e32 v47, 15, v0
	v_lshlrev_b32_e32 v33, 7, v1
	s_delay_alu instid0(VALU_DEP_2) | instskip(SKIP_1) | instid1(VALU_DEP_3)
	v_cmp_gt_u32_e32 vcc_lo, 8, v47
	v_lshlrev_b32_e32 v57, 3, v47
	v_or_b32_e32 v32, v33, v47
	v_or_b32_e32 v48, 8, v47
	v_add_lshl_u32 v56, v33, v47, 3
	v_or_b32_e32 v49, 24, v47
	v_or_b32_e32 v50, 40, v47
	;; [unrolled: 1-line block ×7, first 2 shown]
	s_and_saveexec_b32 s3, vcc_lo
	s_cbranch_execz .LBB0_3
; %bb.2:
	s_load_b64 s[4:5], s[0:1], 0x18
	s_waitcnt lgkmcnt(0)
	s_load_b128 s[4:7], s[4:5], 0x0
	s_clause 0x3
	global_load_b64 v[0:1], v57, s[12:13]
	global_load_b64 v[2:3], v57, s[12:13] offset:64
	global_load_b64 v[4:5], v57, s[12:13] offset:128
	;; [unrolled: 1-line block ×3, first 2 shown]
	s_waitcnt lgkmcnt(0)
	v_mad_u64_u32 v[8:9], null, s6, v44, 0
	v_mad_u64_u32 v[10:11], null, s4, v47, 0
	;; [unrolled: 1-line block ×5, first 2 shown]
	s_delay_alu instid0(VALU_DEP_4) | instskip(NEXT) | instid1(VALU_DEP_4)
	v_mad_u64_u32 v[26:27], null, s7, v44, v[9:10]
	v_mad_u64_u32 v[27:28], null, s5, v47, v[11:12]
	s_delay_alu instid0(VALU_DEP_4) | instskip(NEXT) | instid1(VALU_DEP_4)
	v_mad_u64_u32 v[28:29], null, s5, v48, v[13:14]
	v_mad_u64_u32 v[29:30], null, s5, v49, v[15:16]
	s_delay_alu instid0(VALU_DEP_4) | instskip(SKIP_1) | instid1(VALU_DEP_4)
	v_mov_b32_e32 v9, v26
	s_lshl_b64 s[14:15], s[4:5], 7
	v_mov_b32_e32 v11, v27
	v_mad_u64_u32 v[18:19], null, s4, v51, 0
	s_delay_alu instid0(VALU_DEP_3) | instskip(SKIP_1) | instid1(VALU_DEP_4)
	v_lshlrev_b64 v[8:9], 3, v[8:9]
	v_mov_b32_e32 v13, v28
	v_lshlrev_b64 v[10:11], 3, v[10:11]
	v_mov_b32_e32 v15, v29
	v_mad_u64_u32 v[20:21], null, s4, v53, 0
	v_add_co_u32 v43, s2, s10, v8
	v_lshlrev_b64 v[12:13], 3, v[12:13]
	v_add_co_ci_u32_e64 v70, s2, s11, v9, s2
	s_delay_alu instid0(VALU_DEP_3) | instskip(SKIP_1) | instid1(VALU_DEP_3)
	v_add_co_u32 v10, s2, v43, v10
	v_lshlrev_b64 v[8:9], 3, v[14:15]
	v_add_co_ci_u32_e64 v11, s2, v70, v11, s2
	v_add_co_u32 v12, s2, v43, v12
	s_delay_alu instid0(VALU_DEP_1) | instskip(SKIP_1) | instid1(VALU_DEP_1)
	v_add_co_ci_u32_e64 v13, s2, v70, v13, s2
	v_add_co_u32 v14, s2, v10, s14
	v_add_co_ci_u32_e64 v15, s2, s15, v11, s2
	v_add_co_u32 v8, s2, v43, v8
	s_delay_alu instid0(VALU_DEP_1)
	v_add_co_ci_u32_e64 v9, s2, v70, v9, s2
	s_clause 0x3
	global_load_b64 v[10:11], v[10:11], off
	global_load_b64 v[12:13], v[12:13], off
	;; [unrolled: 1-line block ×4, first 2 shown]
	v_mad_u64_u32 v[22:23], null, s4, v54, 0
	v_mad_u64_u32 v[24:25], null, s4, v55, 0
	;; [unrolled: 1-line block ×4, first 2 shown]
	s_delay_alu instid0(VALU_DEP_4) | instskip(NEXT) | instid1(VALU_DEP_4)
	v_mad_u64_u32 v[35:36], null, s5, v53, v[21:22]
	v_mad_u64_u32 v[28:29], null, s5, v54, v[23:24]
	s_delay_alu instid0(VALU_DEP_4) | instskip(SKIP_1) | instid1(VALU_DEP_1)
	v_mov_b32_e32 v17, v30
	v_add_co_u32 v14, s2, v14, s14
	v_add_co_ci_u32_e64 v15, s2, s15, v15, s2
	s_delay_alu instid0(VALU_DEP_3) | instskip(SKIP_2) | instid1(VALU_DEP_3)
	v_lshlrev_b64 v[16:17], 3, v[16:17]
	v_mov_b32_e32 v23, v28
	v_mov_b32_e32 v19, v34
	v_add_co_u32 v16, s2, v43, v16
	s_delay_alu instid0(VALU_DEP_3) | instskip(SKIP_1) | instid1(VALU_DEP_4)
	v_lshlrev_b64 v[22:23], 3, v[22:23]
	v_add_co_ci_u32_e64 v17, s2, v70, v17, s2
	v_lshlrev_b64 v[18:19], 3, v[18:19]
	s_waitcnt vmcnt(3)
	v_mul_f32_e32 v80, v11, v1
	v_mov_b32_e32 v21, v35
	s_waitcnt vmcnt(1)
	v_mad_u64_u32 v[29:30], null, s5, v55, v[25:26]
	v_mad_u64_u32 v[30:31], null, s4, v52, 0
	v_fmac_f32_e32 v80, v10, v0
	v_lshlrev_b64 v[20:21], 3, v[20:21]
	s_delay_alu instid0(VALU_DEP_4) | instskip(NEXT) | instid1(VALU_DEP_4)
	v_mov_b32_e32 v25, v29
	v_mad_u64_u32 v[40:41], null, s5, v52, v[31:32]
	s_delay_alu instid0(VALU_DEP_3) | instskip(NEXT) | instid1(VALU_DEP_3)
	v_add_co_u32 v20, s2, v43, v20
	v_lshlrev_b64 v[24:25], 3, v[24:25]
	v_add_co_ci_u32_e64 v21, s2, v70, v21, s2
	v_add_co_u32 v22, s2, v43, v22
	s_delay_alu instid0(VALU_DEP_1) | instskip(NEXT) | instid1(VALU_DEP_4)
	v_add_co_ci_u32_e64 v23, s2, v70, v23, s2
	v_add_co_u32 v24, s2, v43, v24
	s_delay_alu instid0(VALU_DEP_1) | instskip(SKIP_1) | instid1(VALU_DEP_1)
	v_add_co_ci_u32_e64 v25, s2, v70, v25, s2
	v_add_co_u32 v38, s2, v14, s14
	v_add_co_ci_u32_e64 v39, s2, s15, v15, s2
	v_add_co_u32 v18, s2, v43, v18
	s_delay_alu instid0(VALU_DEP_1)
	v_add_co_ci_u32_e64 v19, s2, v70, v19, s2
	global_load_b64 v[20:21], v[20:21], off
	global_load_b64 v[28:29], v57, s[12:13] offset:704
	global_load_b64 v[22:23], v[22:23], off
	global_load_b64 v[34:35], v57, s[12:13] offset:832
	global_load_b64 v[24:25], v[24:25], off
	s_clause 0x3
	global_load_b64 v[36:37], v57, s[12:13] offset:960
	global_load_b64 v[41:42], v57, s[12:13] offset:512
	;; [unrolled: 1-line block ×4, first 2 shown]
	s_clause 0x3
	global_load_b64 v[14:15], v[14:15], off
	global_load_b64 v[16:17], v[16:17], off
	;; [unrolled: 1-line block ×4, first 2 shown]
	s_clause 0x3
	global_load_b64 v[62:63], v57, s[12:13] offset:256
	global_load_b64 v[64:65], v57, s[12:13] offset:320
	;; [unrolled: 1-line block ×4, first 2 shown]
	v_mov_b32_e32 v31, v40
	v_add_co_u32 v38, s2, v38, s14
	s_delay_alu instid0(VALU_DEP_1) | instskip(NEXT) | instid1(VALU_DEP_3)
	v_add_co_ci_u32_e64 v39, s2, s15, v39, s2
	v_lshlrev_b64 v[30:31], 3, v[30:31]
	v_lshlrev_b32_e32 v40, 3, v32
	s_delay_alu instid0(VALU_DEP_2) | instskip(NEXT) | instid1(VALU_DEP_1)
	v_add_co_u32 v30, s2, v43, v30
	v_add_co_ci_u32_e64 v31, s2, v70, v31, s2
	v_add_co_u32 v70, s2, v38, s14
	s_delay_alu instid0(VALU_DEP_1) | instskip(SKIP_4) | instid1(VALU_DEP_1)
	v_add_co_ci_u32_e64 v71, s2, s15, v39, s2
	s_clause 0x1
	global_load_b64 v[38:39], v[38:39], off
	global_load_b64 v[30:31], v[30:31], off
	v_add_co_u32 v72, s2, v70, s14
	v_add_co_ci_u32_e64 v73, s2, s15, v71, s2
	global_load_b64 v[70:71], v[70:71], off
	v_add_co_u32 v74, s2, v72, s14
	s_delay_alu instid0(VALU_DEP_1)
	v_add_co_ci_u32_e64 v75, s2, s15, v73, s2
	s_clause 0x1
	global_load_b64 v[76:77], v57, s[12:13] offset:896
	global_load_b64 v[78:79], v57, s[12:13] offset:768
	global_load_b64 v[72:73], v[72:73], off
	global_load_b64 v[74:75], v[74:75], off
	v_mul_f32_e32 v43, v10, v1
	v_mul_f32_e32 v1, v13, v3
	;; [unrolled: 1-line block ×3, first 2 shown]
	s_delay_alu instid0(VALU_DEP_3) | instskip(NEXT) | instid1(VALU_DEP_3)
	v_fma_f32 v81, v11, v0, -v43
	v_fmac_f32_e32 v1, v12, v2
	s_delay_alu instid0(VALU_DEP_3)
	v_fma_f32 v2, v13, v2, -v3
	v_mul_f32_e32 v3, v27, v5
	s_waitcnt vmcnt(24)
	v_dual_mul_f32 v0, v26, v5 :: v_dual_mul_f32 v5, v9, v7
	v_mul_f32_e32 v7, v8, v7
	ds_store_b64 v40, v[80:81]
	v_fmac_f32_e32 v3, v26, v4
	v_fma_f32 v4, v27, v4, -v0
	v_fmac_f32_e32 v5, v8, v6
	v_fma_f32 v6, v9, v6, -v7
	s_waitcnt vmcnt(22)
	v_mul_f32_e32 v82, v21, v29
	s_waitcnt vmcnt(20)
	v_mul_f32_e32 v84, v23, v35
	s_waitcnt vmcnt(10)
	v_mul_f32_e32 v0, v15, v63
	s_waitcnt vmcnt(9)
	v_dual_mul_f32 v8, v14, v63 :: v_dual_mul_f32 v9, v16, v65
	v_dual_mul_f32 v7, v17, v65 :: v_dual_fmac_f32 v82, v20, v28
	s_delay_alu instid0(VALU_DEP_3) | instskip(NEXT) | instid1(VALU_DEP_2)
	v_fmac_f32_e32 v0, v14, v62
	v_dual_fmac_f32 v84, v22, v34 :: v_dual_fmac_f32 v7, v16, v64
	s_waitcnt vmcnt(4)
	v_mul_f32_e32 v11, v71, v59
	s_waitcnt vmcnt(1)
	v_mul_f32_e32 v14, v72, v79
	ds_store_2addr_b64 v56, v[1:2], v[3:4] offset0:8 offset1:16
	v_fma_f32 v1, v15, v62, -v8
	v_fma_f32 v8, v17, v64, -v9
	v_mul_f32_e32 v2, v61, v67
	v_mul_f32_e32 v85, v22, v35
	;; [unrolled: 1-line block ×5, first 2 shown]
	ds_store_2addr_b64 v56, v[5:6], v[0:1] offset0:24 offset1:32
	v_dual_mul_f32 v6, v30, v46 :: v_dual_mul_f32 v3, v60, v67
	v_mul_f32_e32 v4, v19, v69
	v_mul_f32_e32 v0, v39, v42
	;; [unrolled: 1-line block ×3, first 2 shown]
	v_fma_f32 v5, v19, v68, -v9
	v_mul_f32_e32 v9, v31, v46
	v_fma_f32 v10, v31, v45, -v6
	v_dual_mul_f32 v6, v70, v59 :: v_dual_mul_f32 v29, v20, v29
	v_dual_fmac_f32 v4, v18, v68 :: v_dual_mul_f32 v13, v73, v79
	s_waitcnt vmcnt(0)
	v_mul_f32_e32 v15, v75, v77
	v_mul_f32_e32 v16, v74, v77
	v_fmac_f32_e32 v2, v60, v66
	v_fma_f32 v3, v61, v66, -v3
	v_fmac_f32_e32 v0, v38, v41
	v_fma_f32 v1, v39, v41, -v1
	v_fmac_f32_e32 v9, v30, v45
	v_fmac_f32_e32 v11, v70, v58
	v_fma_f32 v12, v71, v58, -v6
	v_fma_f32 v83, v21, v28, -v29
	v_fmac_f32_e32 v13, v72, v78
	v_fma_f32 v14, v73, v78, -v14
	v_fma_f32 v85, v23, v34, -v85
	v_fmac_f32_e32 v15, v74, v76
	v_fma_f32 v16, v75, v76, -v16
	v_fmac_f32_e32 v35, v24, v36
	v_fma_f32 v36, v25, v36, -v37
	ds_store_2addr_b64 v56, v[7:8], v[2:3] offset0:40 offset1:48
	ds_store_2addr_b64 v56, v[4:5], v[0:1] offset0:56 offset1:64
	;; [unrolled: 1-line block ×5, first 2 shown]
	ds_store_b64 v56, v[35:36] offset:960
.LBB0_3:
	s_or_b32 exec_lo, exec_lo, s3
	s_load_b64 s[2:3], s[0:1], 0x20
	s_waitcnt lgkmcnt(0)
	s_barrier
	buffer_gl0_inv
                                        ; implicit-def: $vgpr21
                                        ; implicit-def: $vgpr26
                                        ; implicit-def: $vgpr18
                                        ; implicit-def: $vgpr30
                                        ; implicit-def: $vgpr6
                                        ; implicit-def: $vgpr10
                                        ; implicit-def: $vgpr2
                                        ; implicit-def: $vgpr14
	s_and_saveexec_b32 s4, vcc_lo
	s_cbranch_execz .LBB0_5
; %bb.4:
	v_lshlrev_b32_e32 v20, 3, v32
	ds_load_2addr_b64 v[12:15], v20 offset1:8
	ds_load_2addr_b64 v[0:3], v20 offset0:16 offset1:24
	ds_load_2addr_b64 v[8:11], v20 offset0:32 offset1:40
	;; [unrolled: 1-line block ×7, first 2 shown]
.LBB0_5:
	s_or_b32 exec_lo, exec_lo, s4
	s_waitcnt lgkmcnt(3)
	v_dual_sub_f32 v28, v12, v28 :: v_dual_sub_f32 v29, v13, v29
	s_waitcnt lgkmcnt(1)
	v_dual_sub_f32 v24, v8, v24 :: v_dual_sub_f32 v25, v9, v25
	v_dual_sub_f32 v16, v0, v16 :: v_dual_sub_f32 v17, v1, v17
	s_delay_alu instid0(VALU_DEP_3) | instskip(NEXT) | instid1(VALU_DEP_3)
	v_fma_f32 v12, v12, 2.0, -v28
	v_fma_f32 v8, v8, 2.0, -v24
	s_waitcnt lgkmcnt(0)
	v_dual_sub_f32 v20, v4, v20 :: v_dual_sub_f32 v21, v5, v21
	v_dual_sub_f32 v30, v14, v30 :: v_dual_sub_f32 v31, v15, v31
	;; [unrolled: 1-line block ×5, first 2 shown]
	v_fma_f32 v13, v13, 2.0, -v29
	v_fma_f32 v9, v9, 2.0, -v25
	;; [unrolled: 1-line block ×9, first 2 shown]
	s_delay_alu instid0(VALU_DEP_4) | instskip(SKIP_1) | instid1(VALU_DEP_4)
	v_dual_sub_f32 v8, v12, v8 :: v_dual_sub_f32 v35, v1, v5
	v_fma_f32 v7, v7, 2.0, -v23
	v_dual_sub_f32 v25, v28, v25 :: v_dual_sub_f32 v36, v14, v10
	v_sub_f32_e32 v21, v16, v21
	v_fma_f32 v15, v15, 2.0, -v31
	v_fma_f32 v11, v11, 2.0, -v27
	v_sub_f32_e32 v34, v13, v9
	v_fma_f32 v9, v12, 2.0, -v8
	v_sub_f32_e32 v12, v0, v4
	v_fma_f32 v28, v28, 2.0, -v25
	v_dual_add_f32 v20, v20, v17 :: v_dual_sub_f32 v23, v18, v23
	v_fma_f32 v10, v16, 2.0, -v21
	v_sub_f32_e32 v16, v30, v27
	v_dual_sub_f32 v27, v3, v7 :: v_dual_add_f32 v24, v24, v29
	v_fma_f32 v0, v0, 2.0, -v12
	v_fma_f32 v1, v1, 2.0, -v35
	v_sub_f32_e32 v37, v15, v11
	v_fma_f32 v13, v13, 2.0, -v34
	v_fma_f32 v11, v17, 2.0, -v20
	v_add_f32_e32 v17, v26, v31
	v_fma_f32 v40, v3, 2.0, -v27
	v_dual_fmamk_f32 v3, v10, 0xbf3504f3, v28 :: v_dual_sub_f32 v0, v9, v0
	v_fma_f32 v2, v2, 2.0, -v18
	v_fma_f32 v6, v6, 2.0, -v22
	;; [unrolled: 1-line block ×3, first 2 shown]
	s_delay_alu instid0(VALU_DEP_4) | instskip(SKIP_1) | instid1(VALU_DEP_3)
	v_dual_sub_f32 v4, v13, v1 :: v_dual_fmac_f32 v3, 0xbf3504f3, v11
	v_fma_f32 v38, v30, 2.0, -v16
	v_dual_sub_f32 v26, v2, v6 :: v_dual_fmamk_f32 v5, v11, 0xbf3504f3, v29
	v_add_f32_e32 v22, v22, v19
	v_fma_f32 v18, v18, 2.0, -v23
	v_dual_fmamk_f32 v11, v21, 0x3f3504f3, v25 :: v_dual_sub_f32 v6, v8, v35
	v_fma_f32 v7, v28, 2.0, -v3
	v_add_f32_e32 v28, v12, v34
	v_fma_f32 v15, v15, 2.0, -v37
	s_delay_alu instid0(VALU_DEP_4)
	v_fmac_f32_e32 v11, 0xbf3504f3, v20
	v_fma_f32 v39, v31, 2.0, -v17
	v_fmac_f32_e32 v5, 0x3f3504f3, v10
	v_fma_f32 v19, v19, 2.0, -v22
	v_fma_f32 v10, v34, 2.0, -v28
	v_fmamk_f32 v34, v18, 0xbf3504f3, v38
	v_fma_f32 v14, v14, 2.0, -v36
	v_fma_f32 v31, v2, 2.0, -v26
	;; [unrolled: 1-line block ×3, first 2 shown]
	v_fmamk_f32 v30, v20, 0x3f3504f3, v24
	v_fma_f32 v9, v29, 2.0, -v5
	v_fma_f32 v29, v25, 2.0, -v11
	v_dual_sub_f32 v20, v15, v40 :: v_dual_add_f32 v41, v26, v37
	v_fmamk_f32 v25, v19, 0xbf3504f3, v39
	v_fmamk_f32 v35, v23, 0x3f3504f3, v16
	v_fmac_f32_e32 v34, 0xbf3504f3, v19
	v_fma_f32 v2, v13, 2.0, -v4
	s_delay_alu instid0(VALU_DEP_4)
	v_dual_fmac_f32 v30, 0x3f3504f3, v21 :: v_dual_fmac_f32 v25, 0x3f3504f3, v18
	v_sub_f32_e32 v21, v14, v31
	v_fma_f32 v13, v15, 2.0, -v20
	v_dual_sub_f32 v40, v36, v27 :: v_dual_fmac_f32 v35, 0xbf3504f3, v22
	v_fma_f32 v19, v38, 2.0, -v34
	v_fmamk_f32 v38, v22, 0x3f3504f3, v17
	s_delay_alu instid0(VALU_DEP_4)
	v_sub_f32_e32 v13, v2, v13
	v_fma_f32 v12, v14, 2.0, -v21
	v_fma_f32 v18, v39, 2.0, -v25
	;; [unrolled: 1-line block ×3, first 2 shown]
	v_fmac_f32_e32 v38, 0x3f3504f3, v23
	v_fma_f32 v23, v37, 2.0, -v41
	s_load_b64 s[0:1], s[0:1], 0x8
	v_fma_f32 v8, v8, 2.0, -v6
	v_fma_f32 v31, v24, 2.0, -v30
	;; [unrolled: 1-line block ×3, first 2 shown]
	v_dual_fmamk_f32 v14, v19, 0xbf6c835e, v7 :: v_dual_add_f32 v21, v21, v4
	v_fma_f32 v26, v17, 2.0, -v38
	v_dual_sub_f32 v12, v1, v12 :: v_dual_fmamk_f32 v15, v18, 0xbf6c835e, v9
	v_dual_fmamk_f32 v17, v23, 0xbf3504f3, v10 :: v_dual_sub_f32 v20, v0, v20
	s_delay_alu instid0(VALU_DEP_4)
	v_fmac_f32_e32 v14, 0xbec3ef15, v18
	v_dual_fmamk_f32 v16, v22, 0xbf3504f3, v8 :: v_dual_lshlrev_b32 v59, 3, v33
	v_fmamk_f32 v18, v24, 0xbec3ef15, v29
	v_fmac_f32_e32 v15, 0x3ec3ef15, v19
	v_fmamk_f32 v19, v26, 0xbec3ef15, v31
	v_fmac_f32_e32 v17, 0x3f3504f3, v22
	;; [unrolled: 2-line block ×3, first 2 shown]
	v_fmac_f32_e32 v18, 0xbf6c835e, v26
	v_fmac_f32_e32 v19, 0x3f6c835e, v24
	v_fmamk_f32 v23, v25, 0x3ec3ef15, v5
	v_fmac_f32_e32 v22, 0xbf6c835e, v25
	v_fmamk_f32 v25, v41, 0x3f3504f3, v28
	v_fmamk_f32 v24, v40, 0x3f3504f3, v6
	v_dual_fmamk_f32 v26, v35, 0x3f6c835e, v11 :: v_dual_fmamk_f32 v27, v38, 0x3f6c835e, v30
	v_fmac_f32_e32 v23, 0x3f6c835e, v34
	s_delay_alu instid0(VALU_DEP_4) | instskip(NEXT) | instid1(VALU_DEP_4)
	v_fmac_f32_e32 v25, 0x3f3504f3, v40
	v_fmac_f32_e32 v24, 0xbf3504f3, v41
	s_delay_alu instid0(VALU_DEP_4)
	v_fmac_f32_e32 v26, 0xbec3ef15, v38
	v_fmac_f32_e32 v27, 0x3ec3ef15, v35
	s_waitcnt lgkmcnt(0)
	s_barrier
	buffer_gl0_inv
	s_and_saveexec_b32 s4, vcc_lo
	s_cbranch_execz .LBB0_7
; %bb.6:
	v_fma_f32 v36, v30, 2.0, -v27
	v_fma_f32 v34, v28, 2.0, -v25
	;; [unrolled: 1-line block ×10, first 2 shown]
	v_lshl_or_b32 v1, v47, 7, v59
	v_fma_f32 v39, v3, 2.0, -v22
	v_fma_f32 v3, v10, 2.0, -v17
	;; [unrolled: 1-line block ×6, first 2 shown]
	ds_store_b128 v1, v[28:31]
	ds_store_b128 v1, v[2:5] offset:16
	ds_store_b128 v1, v[37:40] offset:32
	;; [unrolled: 1-line block ×7, first 2 shown]
.LBB0_7:
	s_or_b32 exec_lo, exec_lo, s4
	v_mad_u64_u32 v[28:29], null, v47, 56, s[0:1]
	s_load_b128 s[0:3], s[2:3], 0x0
	s_waitcnt lgkmcnt(0)
	s_barrier
	buffer_gl0_inv
	s_clause 0x3
	global_load_b128 v[8:11], v[28:29], off
	global_load_b128 v[4:7], v[28:29], off offset:16
	global_load_b128 v[0:3], v[28:29], off offset:32
	global_load_b64 v[45:46], v[28:29], off offset:48
	v_lshlrev_b32_e32 v58, 3, v32
	ds_load_2addr_b64 v[28:31], v58 offset1:16
	ds_load_2addr_b64 v[32:35], v58 offset0:32 offset1:48
	ds_load_2addr_b64 v[36:39], v58 offset0:64 offset1:80
	;; [unrolled: 1-line block ×3, first 2 shown]
	s_waitcnt vmcnt(3) lgkmcnt(3)
	v_mul_f32_e32 v61, v30, v9
	s_waitcnt lgkmcnt(2)
	v_dual_mul_f32 v60, v31, v9 :: v_dual_mul_f32 v63, v32, v11
	s_waitcnt vmcnt(2)
	v_dual_mul_f32 v62, v33, v11 :: v_dual_mul_f32 v65, v34, v5
	s_waitcnt lgkmcnt(1)
	v_dual_mul_f32 v64, v35, v5 :: v_dual_mul_f32 v67, v36, v7
	s_waitcnt vmcnt(1)
	v_dual_mul_f32 v66, v37, v7 :: v_dual_mul_f32 v69, v38, v1
	s_waitcnt lgkmcnt(0)
	v_dual_mul_f32 v68, v39, v1 :: v_dual_mul_f32 v71, v40, v3
	v_fma_f32 v30, v30, v8, -v60
	v_fmac_f32_e32 v61, v31, v8
	v_fma_f32 v31, v32, v10, -v62
	v_fma_f32 v32, v34, v4, -v64
	v_fmac_f32_e32 v63, v33, v10
	v_fma_f32 v33, v36, v6, -v66
	s_waitcnt vmcnt(0)
	v_mul_f32_e32 v72, v43, v46
	v_fma_f32 v34, v38, v0, -v68
	v_dual_mul_f32 v70, v41, v3 :: v_dual_mul_f32 v73, v42, v46
	v_sub_f32_e32 v33, v28, v33
	s_delay_alu instid0(VALU_DEP_4) | instskip(NEXT) | instid1(VALU_DEP_4)
	v_fma_f32 v36, v42, v45, -v72
	v_sub_f32_e32 v34, v30, v34
	v_fmac_f32_e32 v71, v41, v2
	s_delay_alu instid0(VALU_DEP_4) | instskip(NEXT) | instid1(VALU_DEP_4)
	v_fma_f32 v28, v28, 2.0, -v33
	v_dual_sub_f32 v36, v32, v36 :: v_dual_fmac_f32 v67, v37, v6
	s_delay_alu instid0(VALU_DEP_3)
	v_sub_f32_e32 v38, v63, v71
	v_fmac_f32_e32 v65, v35, v4
	v_fma_f32 v35, v40, v2, -v70
	v_fma_f32 v30, v30, 2.0, -v34
	v_fma_f32 v32, v32, 2.0, -v36
	v_sub_f32_e32 v60, v33, v38
	v_sub_f32_e32 v37, v29, v67
	;; [unrolled: 1-line block ×3, first 2 shown]
	v_fma_f32 v41, v63, 2.0, -v38
	v_sub_f32_e32 v32, v30, v32
	v_fma_f32 v63, v33, 2.0, -v60
	v_fma_f32 v29, v29, 2.0, -v37
	;; [unrolled: 1-line block ×3, first 2 shown]
	v_fmac_f32_e32 v73, v43, v45
	s_delay_alu instid0(VALU_DEP_2) | instskip(NEXT) | instid1(VALU_DEP_2)
	v_dual_sub_f32 v41, v29, v41 :: v_dual_sub_f32 v62, v28, v31
	v_dual_fmac_f32 v69, v39, v0 :: v_dual_sub_f32 v40, v65, v73
	s_delay_alu instid0(VALU_DEP_2) | instskip(NEXT) | instid1(VALU_DEP_2)
	v_fma_f32 v66, v29, 2.0, -v41
	v_fma_f32 v43, v65, 2.0, -v40
	v_sub_f32_e32 v40, v34, v40
	v_fma_f32 v65, v28, 2.0, -v62
	v_fma_f32 v28, v30, 2.0, -v32
	s_delay_alu instid0(VALU_DEP_3) | instskip(SKIP_1) | instid1(VALU_DEP_3)
	v_fma_f32 v34, v34, 2.0, -v40
	v_dual_sub_f32 v39, v61, v69 :: v_dual_fmamk_f32 v38, v40, 0x3f3504f3, v60
	v_sub_f32_e32 v28, v65, v28
	s_delay_alu instid0(VALU_DEP_3) | instskip(NEXT) | instid1(VALU_DEP_3)
	v_fmamk_f32 v30, v34, 0xbf3504f3, v63
	v_fma_f32 v42, v61, 2.0, -v39
	v_add_f32_e32 v61, v39, v36
	s_delay_alu instid0(VALU_DEP_2) | instskip(NEXT) | instid1(VALU_DEP_2)
	v_sub_f32_e32 v33, v42, v43
	v_fma_f32 v43, v39, 2.0, -v61
	s_delay_alu instid0(VALU_DEP_1) | instskip(SKIP_1) | instid1(VALU_DEP_4)
	v_fmac_f32_e32 v30, 0xbf3504f3, v43
	v_dual_fmac_f32 v38, 0xbf3504f3, v61 :: v_dual_add_f32 v35, v37, v35
	v_sub_f32_e32 v36, v62, v33
	v_fma_f32 v29, v42, 2.0, -v33
	s_delay_alu instid0(VALU_DEP_3) | instskip(NEXT) | instid1(VALU_DEP_4)
	v_fma_f32 v42, v60, 2.0, -v38
	v_fma_f32 v64, v37, 2.0, -v35
	v_fmamk_f32 v39, v61, 0x3f3504f3, v35
	v_add_f32_e32 v37, v41, v32
	v_sub_f32_e32 v29, v66, v29
	v_fma_f32 v32, v65, 2.0, -v28
	v_fmamk_f32 v31, v43, 0xbf3504f3, v64
	v_fmac_f32_e32 v39, 0x3f3504f3, v40
	v_fma_f32 v40, v62, 2.0, -v36
	v_fma_f32 v41, v41, 2.0, -v37
	;; [unrolled: 1-line block ×3, first 2 shown]
	v_fmac_f32_e32 v31, 0x3f3504f3, v34
	v_fma_f32 v43, v35, 2.0, -v39
	v_fma_f32 v34, v63, 2.0, -v30
	s_delay_alu instid0(VALU_DEP_3)
	v_fma_f32 v35, v64, 2.0, -v31
	ds_store_2addr_b64 v58, v[36:37], v[38:39] offset0:96 offset1:112
	ds_store_2addr_b64 v58, v[40:41], v[42:43] offset0:32 offset1:48
	;; [unrolled: 1-line block ×3, first 2 shown]
	ds_store_2addr_b64 v58, v[32:33], v[34:35] offset1:16
	s_waitcnt lgkmcnt(0)
	s_barrier
	buffer_gl0_inv
	s_and_saveexec_b32 s6, vcc_lo
	s_cbranch_execz .LBB0_9
; %bb.8:
	global_load_b64 v[60:61], v57, s[12:13] offset:1024
	s_add_u32 s4, s12, 0x400
	s_addc_u32 s5, s13, 0
	s_clause 0xe
	global_load_b64 v[88:89], v57, s[4:5] offset:64
	global_load_b64 v[90:91], v57, s[4:5] offset:128
	;; [unrolled: 1-line block ×15, first 2 shown]
	ds_load_b64 v[62:63], v58
	s_waitcnt vmcnt(15) lgkmcnt(0)
	v_mul_f32_e32 v64, v63, v61
	v_mul_f32_e32 v65, v62, v61
	s_delay_alu instid0(VALU_DEP_2) | instskip(NEXT) | instid1(VALU_DEP_2)
	v_fma_f32 v64, v62, v60, -v64
	v_fmac_f32_e32 v65, v63, v60
	ds_store_b64 v58, v[64:65]
	ds_load_2addr_b64 v[60:63], v56 offset0:8 offset1:16
	ds_load_2addr_b64 v[64:67], v56 offset0:24 offset1:32
	;; [unrolled: 1-line block ×7, first 2 shown]
	ds_load_b64 v[118:119], v56 offset:960
	s_waitcnt vmcnt(14) lgkmcnt(7)
	v_mul_f32_e32 v120, v61, v89
	s_waitcnt vmcnt(11) lgkmcnt(6)
	v_dual_mul_f32 v121, v60, v89 :: v_dual_mul_f32 v124, v67, v95
	v_mul_f32_e32 v122, v63, v91
	v_mul_f32_e32 v89, v62, v91
	s_waitcnt vmcnt(9) lgkmcnt(5)
	v_dual_mul_f32 v123, v65, v93 :: v_dual_mul_f32 v126, v71, v99
	s_waitcnt vmcnt(7) lgkmcnt(4)
	v_dual_mul_f32 v91, v64, v93 :: v_dual_mul_f32 v128, v75, v103
	v_mul_f32_e32 v93, v66, v95
	s_waitcnt vmcnt(5) lgkmcnt(3)
	v_dual_mul_f32 v125, v69, v97 :: v_dual_mul_f32 v130, v79, v107
	s_waitcnt vmcnt(3) lgkmcnt(2)
	v_dual_mul_f32 v95, v68, v97 :: v_dual_mul_f32 v132, v83, v111
	v_mul_f32_e32 v97, v70, v99
	s_waitcnt vmcnt(1) lgkmcnt(1)
	v_dual_mul_f32 v127, v73, v101 :: v_dual_mul_f32 v134, v87, v115
	v_mul_f32_e32 v99, v72, v101
	v_mul_f32_e32 v101, v74, v103
	;; [unrolled: 1-line block ×11, first 2 shown]
	s_waitcnt vmcnt(0) lgkmcnt(0)
	v_mul_f32_e32 v135, v119, v117
	v_mul_f32_e32 v115, v118, v117
	v_fma_f32 v120, v60, v88, -v120
	v_fmac_f32_e32 v121, v61, v88
	v_fma_f32 v88, v62, v90, -v122
	v_fmac_f32_e32 v89, v63, v90
	;; [unrolled: 2-line block ×15, first 2 shown]
	ds_store_2addr_b64 v56, v[120:121], v[88:89] offset0:8 offset1:16
	ds_store_2addr_b64 v56, v[90:91], v[92:93] offset0:24 offset1:32
	;; [unrolled: 1-line block ×7, first 2 shown]
	ds_store_b64 v56, v[114:115] offset:960
.LBB0_9:
	s_or_b32 exec_lo, exec_lo, s6
	s_waitcnt lgkmcnt(0)
	s_barrier
	buffer_gl0_inv
	s_and_saveexec_b32 s4, vcc_lo
	s_cbranch_execz .LBB0_11
; %bb.10:
	ds_load_2addr_b64 v[32:35], v58 offset1:8
	ds_load_2addr_b64 v[40:43], v58 offset0:16 offset1:24
	ds_load_2addr_b64 v[28:31], v58 offset0:32 offset1:40
	;; [unrolled: 1-line block ×7, first 2 shown]
.LBB0_11:
	s_or_b32 exec_lo, exec_lo, s4
	s_waitcnt lgkmcnt(0)
	s_barrier
	buffer_gl0_inv
	s_and_saveexec_b32 s4, vcc_lo
	s_cbranch_execz .LBB0_13
; %bb.12:
	v_dual_sub_f32 v17, v41, v17 :: v_dual_sub_f32 v24, v36, v24
	v_dual_sub_f32 v60, v33, v13 :: v_dual_sub_f32 v61, v43, v19
	;; [unrolled: 1-line block ×3, first 2 shown]
	s_delay_alu instid0(VALU_DEP_3) | instskip(NEXT) | instid1(VALU_DEP_2)
	v_dual_sub_f32 v62, v17, v24 :: v_dual_sub_f32 v19, v30, v22
	v_dual_sub_f32 v26, v35, v15 :: v_dual_sub_f32 v63, v60, v20
	;; [unrolled: 1-line block ×5, first 2 shown]
	s_delay_alu instid0(VALU_DEP_2) | instskip(SKIP_2) | instid1(VALU_DEP_3)
	v_dual_sub_f32 v64, v26, v19 :: v_dual_add_f32 v69, v27, v18
	v_dual_sub_f32 v65, v34, v14 :: v_dual_sub_f32 v14, v29, v21
	v_fma_f32 v13, v38, 2.0, -v13
	v_dual_fmamk_f32 v68, v25, 0x3f3504f3, v64 :: v_dual_add_f32 v67, v22, v16
	s_delay_alu instid0(VALU_DEP_3)
	v_add_f32_e32 v70, v23, v65
	v_fmamk_f32 v66, v62, 0x3f3504f3, v63
	v_fma_f32 v23, v31, 2.0, -v23
	v_fma_f32 v31, v42, 2.0, -v18
	;; [unrolled: 1-line block ×3, first 2 shown]
	v_dual_fmamk_f32 v71, v69, 0x3f3504f3, v70 :: v_dual_sub_f32 v12, v32, v12
	v_fma_f32 v21, v33, 2.0, -v60
	s_delay_alu instid0(VALU_DEP_4) | instskip(SKIP_1) | instid1(VALU_DEP_4)
	v_sub_f32_e32 v38, v31, v13
	v_fma_f32 v13, v39, 2.0, -v27
	v_dual_fmac_f32 v71, 0x3f3504f3, v25 :: v_dual_add_f32 v72, v14, v12
	v_fma_f32 v14, v29, 2.0, -v14
	v_fma_f32 v29, v40, 2.0, -v16
	;; [unrolled: 1-line block ×4, first 2 shown]
	v_fmac_f32_e32 v66, 0xbf3504f3, v67
	v_fma_f32 v33, v35, 2.0, -v26
	v_sub_f32_e32 v35, v21, v14
	s_delay_alu instid0(VALU_DEP_4) | instskip(SKIP_3) | instid1(VALU_DEP_4)
	v_dual_sub_f32 v39, v40, v13 :: v_dual_sub_f32 v42, v27, v19
	v_fmac_f32_e32 v68, 0xbf3504f3, v69
	v_fma_f32 v22, v37, 2.0, -v22
	v_fma_f32 v24, v36, 2.0, -v24
	v_dual_sub_f32 v36, v33, v23 :: v_dual_add_f32 v37, v39, v42
	s_delay_alu instid0(VALU_DEP_4) | instskip(SKIP_1) | instid1(VALU_DEP_4)
	v_fmamk_f32 v15, v68, 0x3f6c835e, v66
	v_fma_f32 v41, v41, 2.0, -v17
	v_sub_f32_e32 v24, v29, v24
	v_fma_f32 v17, v17, 2.0, -v62
	v_fma_f32 v16, v16, 2.0, -v67
	v_fmac_f32_e32 v15, 0xbec3ef15, v71
	v_fmamk_f32 v73, v67, 0x3f3504f3, v72
	v_sub_f32_e32 v43, v41, v22
	v_fma_f32 v22, v61, 2.0, -v25
	v_fma_f32 v18, v18, 2.0, -v69
	;; [unrolled: 1-line block ×3, first 2 shown]
	v_fmac_f32_e32 v73, 0x3f3504f3, v62
	v_sub_f32_e32 v34, v36, v38
	v_fma_f32 v62, v26, 2.0, -v64
	v_sub_f32_e32 v30, v35, v24
	v_fma_f32 v65, v12, 2.0, -v72
	v_fmamk_f32 v14, v71, 0x3f6c835e, v73
	v_fma_f32 v32, v32, 2.0, -v12
	v_fma_f32 v60, v60, 2.0, -v63
	;; [unrolled: 1-line block ×3, first 2 shown]
	v_fmamk_f32 v67, v22, 0xbf3504f3, v62
	v_fmamk_f32 v69, v18, 0xbf3504f3, v61
	;; [unrolled: 1-line block ×3, first 2 shown]
	v_fma_f32 v20, v31, 2.0, -v38
	v_fmamk_f32 v74, v16, 0xbf3504f3, v65
	v_dual_fmamk_f32 v28, v17, 0xbf3504f3, v60 :: v_dual_sub_f32 v75, v32, v12
	v_fmac_f32_e32 v69, 0x3f3504f3, v22
	v_fma_f32 v38, v63, 2.0, -v66
	s_delay_alu instid0(VALU_DEP_4)
	v_fmac_f32_e32 v74, 0x3f3504f3, v17
	v_fma_f32 v17, v41, 2.0, -v43
	v_fma_f32 v41, v27, 2.0, -v42
	;; [unrolled: 1-line block ×3, first 2 shown]
	v_dual_fmac_f32 v28, 0xbf3504f3, v16 :: v_dual_fmac_f32 v67, 0xbf3504f3, v18
	v_dual_fmac_f32 v13, 0xbf3504f3, v37 :: v_dual_add_f32 v16, v43, v75
	v_fma_f32 v76, v21, 2.0, -v35
	v_sub_f32_e32 v77, v41, v20
	v_fma_f32 v32, v32, 2.0, -v75
	v_fma_f32 v20, v29, 2.0, -v24
	;; [unrolled: 1-line block ×4, first 2 shown]
	v_fmamk_f32 v31, v63, 0xbec3ef15, v38
	v_fma_f32 v29, v70, 2.0, -v71
	v_fma_f32 v33, v72, 2.0, -v73
	v_fma_f32 v39, v35, 2.0, -v30
	v_fma_f32 v40, v36, 2.0, -v34
	v_sub_f32_e32 v36, v24, v25
	v_dual_fmac_f32 v14, 0x3ec3ef15, v68 :: v_dual_sub_f32 v43, v76, v17
	v_dual_fmamk_f32 v23, v67, 0x3ec3ef15, v28 :: v_dual_sub_f32 v64, v32, v20
	v_fmamk_f32 v12, v37, 0x3f3504f3, v16
	v_fma_f32 v17, v30, 2.0, -v13
	v_fmamk_f32 v30, v29, 0xbec3ef15, v33
	v_fma_f32 v37, v42, 2.0, -v37
	v_fma_f32 v42, v60, 2.0, -v28
	;; [unrolled: 1-line block ×5, first 2 shown]
	v_fmac_f32_e32 v31, 0xbf6c835e, v29
	v_fmamk_f32 v29, v40, 0xbf3504f3, v39
	v_dual_fmac_f32 v23, 0xbf6c835e, v69 :: v_dual_add_f32 v20, v36, v64
	v_fmac_f32_e32 v30, 0x3f6c835e, v63
	v_fma_f32 v24, v24, 2.0, -v36
	v_fma_f32 v32, v32, 2.0, -v64
	;; [unrolled: 1-line block ×3, first 2 shown]
	v_fmac_f32_e32 v29, 0xbf3504f3, v37
	v_fma_f32 v63, v75, 2.0, -v16
	v_dual_fmamk_f32 v22, v69, 0x3ec3ef15, v74 :: v_dual_sub_f32 v21, v43, v77
	v_fmac_f32_e32 v12, 0x3f3504f3, v34
	v_fma_f32 v35, v38, 2.0, -v31
	v_fma_f32 v34, v33, 2.0, -v30
	v_fmamk_f32 v38, v61, 0xbf6c835e, v62
	v_fma_f32 v65, v76, 2.0, -v43
	v_sub_f32_e32 v36, v32, v36
	v_fma_f32 v33, v39, 2.0, -v29
	v_fmamk_f32 v39, v60, 0xbf6c835e, v42
	v_fma_f32 v27, v28, 2.0, -v23
	v_fmamk_f32 v28, v37, 0xbf3504f3, v63
	v_dual_fmac_f32 v22, 0x3f6c835e, v67 :: v_dual_sub_f32 v37, v65, v24
	s_delay_alu instid0(VALU_DEP_4) | instskip(SKIP_1) | instid1(VALU_DEP_4)
	v_fmac_f32_e32 v39, 0xbec3ef15, v61
	v_fmac_f32_e32 v38, 0x3ec3ef15, v60
	;; [unrolled: 1-line block ×3, first 2 shown]
	v_fma_f32 v25, v43, 2.0, -v21
	v_fma_f32 v41, v65, 2.0, -v37
	;; [unrolled: 1-line block ×5, first 2 shown]
	v_lshl_or_b32 v59, v47, 7, v59
	v_fma_f32 v32, v63, 2.0, -v28
	v_fma_f32 v26, v74, 2.0, -v22
	;; [unrolled: 1-line block ×6, first 2 shown]
	ds_store_b128 v59, v[40:43]
	ds_store_b128 v59, v[32:35] offset:16
	ds_store_b128 v59, v[24:27] offset:32
	ds_store_b128 v59, v[16:19] offset:48
	ds_store_b128 v59, v[36:39] offset:64
	ds_store_b128 v59, v[28:31] offset:80
	ds_store_b128 v59, v[20:23] offset:96
	ds_store_b128 v59, v[12:15] offset:112
.LBB0_13:
	s_or_b32 exec_lo, exec_lo, s4
	s_waitcnt lgkmcnt(0)
	s_barrier
	buffer_gl0_inv
	ds_load_2addr_b64 v[12:15], v58 offset1:16
	ds_load_2addr_b64 v[16:19], v58 offset0:32 offset1:48
	ds_load_2addr_b64 v[20:23], v58 offset0:64 offset1:80
	;; [unrolled: 1-line block ×3, first 2 shown]
	s_waitcnt lgkmcnt(2)
	v_dual_mul_f32 v28, v9, v15 :: v_dual_mul_f32 v29, v11, v17
	s_waitcnt lgkmcnt(1)
	v_dual_mul_f32 v31, v7, v21 :: v_dual_mul_f32 v32, v1, v23
	v_mul_f32_e32 v9, v9, v14
	v_dual_mul_f32 v11, v11, v16 :: v_dual_mul_f32 v30, v5, v19
	v_mul_f32_e32 v5, v5, v18
	v_dual_mul_f32 v7, v7, v20 :: v_dual_fmac_f32 v28, v8, v14
	v_dual_fmac_f32 v31, v6, v20 :: v_dual_fmac_f32 v32, v0, v22
	v_mul_f32_e32 v1, v1, v22
	v_dual_fmac_f32 v29, v10, v16 :: v_dual_fmac_f32 v30, v4, v18
	v_fma_f32 v4, v4, v19, -v5
	v_fma_f32 v5, v6, v21, -v7
	s_waitcnt lgkmcnt(0)
	v_mul_f32_e32 v6, v3, v25
	v_fma_f32 v8, v8, v15, -v9
	v_fma_f32 v9, v10, v17, -v11
	v_sub_f32_e32 v10, v12, v31
	v_fma_f32 v0, v0, v23, -v1
	v_fmac_f32_e32 v6, v2, v24
	v_mul_f32_e32 v1, v3, v24
	v_mul_f32_e32 v3, v46, v27
	v_sub_f32_e32 v11, v28, v32
	v_sub_f32_e32 v0, v8, v0
	;; [unrolled: 1-line block ×3, first 2 shown]
	v_fma_f32 v1, v2, v25, -v1
	s_delay_alu instid0(VALU_DEP_3) | instskip(SKIP_1) | instid1(VALU_DEP_1)
	v_fma_f32 v8, v8, 2.0, -v0
	v_mul_f32_e32 v7, v46, v26
	v_fma_f32 v2, v45, v27, -v7
	v_sub_f32_e32 v5, v13, v5
	v_fma_f32 v7, v12, 2.0, -v10
	s_delay_alu instid0(VALU_DEP_3) | instskip(SKIP_1) | instid1(VALU_DEP_4)
	v_dual_sub_f32 v2, v4, v2 :: v_dual_sub_f32 v1, v9, v1
	v_fmac_f32_e32 v3, v45, v26
	v_fma_f32 v12, v13, 2.0, -v5
	v_fma_f32 v13, v29, 2.0, -v6
	v_sub_f32_e32 v17, v5, v6
	v_fma_f32 v9, v9, 2.0, -v1
	v_add_f32_e32 v16, v10, v1
	v_fma_f32 v1, v4, 2.0, -v2
	v_sub_f32_e32 v13, v7, v13
	v_fma_f32 v20, v5, 2.0, -v17
	s_delay_alu instid0(VALU_DEP_4) | instskip(NEXT) | instid1(VALU_DEP_4)
	v_fma_f32 v10, v10, 2.0, -v16
	v_sub_f32_e32 v18, v8, v1
	v_sub_f32_e32 v15, v12, v9
	v_fma_f32 v4, v7, 2.0, -v13
	v_sub_f32_e32 v3, v30, v3
	s_delay_alu instid0(VALU_DEP_3) | instskip(SKIP_1) | instid1(VALU_DEP_3)
	v_fma_f32 v7, v12, 2.0, -v15
	v_add_f32_e32 v12, v11, v2
	v_fma_f32 v9, v30, 2.0, -v3
	v_sub_f32_e32 v19, v0, v3
	v_fma_f32 v3, v8, 2.0, -v18
	s_delay_alu instid0(VALU_DEP_4) | instskip(NEXT) | instid1(VALU_DEP_3)
	v_fma_f32 v6, v11, 2.0, -v12
	v_fma_f32 v5, v0, 2.0, -v19
	s_delay_alu instid0(VALU_DEP_2) | instskip(SKIP_1) | instid1(VALU_DEP_2)
	v_fmamk_f32 v2, v6, 0xbf3504f3, v10
	v_fma_f32 v14, v28, 2.0, -v11
	v_fmac_f32_e32 v2, 0x3f3504f3, v5
	s_delay_alu instid0(VALU_DEP_2) | instskip(NEXT) | instid1(VALU_DEP_2)
	v_sub_f32_e32 v9, v14, v9
	v_fma_f32 v8, v10, 2.0, -v2
	s_delay_alu instid0(VALU_DEP_2) | instskip(NEXT) | instid1(VALU_DEP_1)
	v_fma_f32 v1, v14, 2.0, -v9
	v_dual_sub_f32 v0, v4, v1 :: v_dual_sub_f32 v1, v7, v3
	v_fmamk_f32 v3, v5, 0xbf3504f3, v20
	s_delay_alu instid0(VALU_DEP_2) | instskip(NEXT) | instid1(VALU_DEP_3)
	v_fma_f32 v4, v4, 2.0, -v0
	v_fma_f32 v5, v7, 2.0, -v1
	s_delay_alu instid0(VALU_DEP_3) | instskip(SKIP_2) | instid1(VALU_DEP_2)
	v_fmac_f32_e32 v3, 0xbf3504f3, v6
	v_dual_fmamk_f32 v6, v12, 0x3f3504f3, v16 :: v_dual_fmamk_f32 v7, v19, 0x3f3504f3, v17
	v_add_f32_e32 v10, v13, v18
	v_dual_fmac_f32 v6, 0x3f3504f3, v19 :: v_dual_sub_f32 v11, v15, v9
	s_delay_alu instid0(VALU_DEP_3) | instskip(SKIP_1) | instid1(VALU_DEP_4)
	v_fmac_f32_e32 v7, 0xbf3504f3, v12
	v_fma_f32 v9, v20, 2.0, -v3
	v_fma_f32 v12, v13, 2.0, -v10
	s_delay_alu instid0(VALU_DEP_4)
	v_fma_f32 v14, v16, 2.0, -v6
	v_fma_f32 v13, v15, 2.0, -v11
	;; [unrolled: 1-line block ×3, first 2 shown]
	ds_store_2addr_b64 v58, v[4:5], v[8:9] offset1:16
	ds_store_2addr_b64 v58, v[12:13], v[14:15] offset0:32 offset1:48
	ds_store_2addr_b64 v58, v[0:1], v[2:3] offset0:64 offset1:80
	;; [unrolled: 1-line block ×3, first 2 shown]
	s_waitcnt lgkmcnt(0)
	s_barrier
	buffer_gl0_inv
	s_and_b32 exec_lo, exec_lo, vcc_lo
	s_cbranch_execz .LBB0_15
; %bb.14:
	s_clause 0xf
	global_load_b64 v[28:29], v57, s[12:13]
	global_load_b64 v[30:31], v57, s[12:13] offset:64
	global_load_b64 v[32:33], v57, s[12:13] offset:128
	;; [unrolled: 1-line block ×15, first 2 shown]
	ds_load_b64 v[57:58], v58
	ds_load_b64 v[91:92], v56 offset:960
	ds_load_2addr_b64 v[0:3], v56 offset0:8 offset1:16
	ds_load_2addr_b64 v[4:7], v56 offset0:24 offset1:32
	v_mad_u64_u32 v[73:74], null, s2, v44, 0
	v_mad_u64_u32 v[75:76], null, s0, v47, 0
	;; [unrolled: 1-line block ×4, first 2 shown]
	ds_load_2addr_b64 v[20:23], v56 offset0:88 offset1:96
	v_mad_u64_u32 v[81:82], null, s0, v50, 0
	v_mad_u64_u32 v[83:84], null, s0, v51, 0
	;; [unrolled: 1-line block ×6, first 2 shown]
	ds_load_2addr_b64 v[8:11], v56 offset0:40 offset1:48
	ds_load_2addr_b64 v[12:15], v56 offset0:56 offset1:64
	;; [unrolled: 1-line block ×4, first 2 shown]
	v_mov_b32_e32 v56, v74
	v_mov_b32_e32 v74, v76
	;; [unrolled: 1-line block ×10, first 2 shown]
	s_waitcnt lgkmcnt(8)
	v_mad_u64_u32 v[94:95], null, s3, v44, v[56:57]
	v_mad_u64_u32 v[95:96], null, s1, v47, v[74:75]
	v_mad_u64_u32 v[96:97], null, s1, v48, v[76:77]
	s_lshl_b64 s[4:5], s[0:1], 7
	s_delay_alu instid0(VALU_DEP_3) | instskip(SKIP_1) | instid1(VALU_DEP_3)
	v_mov_b32_e32 v74, v94
	s_waitcnt vmcnt(14) lgkmcnt(6)
	v_dual_mov_b32 v76, v95 :: v_dual_mul_f32 v97, v1, v31
	s_waitcnt vmcnt(13)
	v_mul_f32_e32 v98, v3, v33
	v_mul_f32_e32 v33, v2, v33
	v_mad_u64_u32 v[47:48], null, s1, v49, v[78:79]
	s_waitcnt vmcnt(12) lgkmcnt(5)
	v_mul_f32_e32 v99, v5, v35
	v_mad_u64_u32 v[48:49], null, s1, v50, v[80:81]
	v_mul_f32_e32 v35, v4, v35
	s_waitcnt vmcnt(10) lgkmcnt(3)
	v_mul_f32_e32 v101, v9, v39
	s_waitcnt vmcnt(4)
	v_dual_mul_f32 v107, v21, v64 :: v_dual_mov_b32 v80, v47
	v_mul_f32_e32 v100, v7, v37
	v_mul_f32_e32 v37, v6, v37
	v_mad_u64_u32 v[49:50], null, s1, v51, v[82:83]
	s_delay_alu instid0(VALU_DEP_4)
	v_fmac_f32_e32 v107, v20, v63
	v_mad_u64_u32 v[50:51], null, s1, v52, v[84:85]
	v_mad_u64_u32 v[51:52], null, s1, v53, v[86:87]
	s_waitcnt vmcnt(2) lgkmcnt(0)
	v_dual_mov_b32 v82, v48 :: v_dual_mul_f32 v109, v25, v68
	v_mul_f32_e32 v39, v8, v39
	v_mad_u64_u32 v[52:53], null, s1, v54, v[88:89]
	v_mul_f32_e32 v103, v13, v43
	v_mul_f32_e32 v43, v12, v43
	v_lshlrev_b64 v[47:48], 3, v[73:74]
	v_mad_u64_u32 v[53:54], null, s1, v55, v[90:91]
	v_dual_mov_b32 v78, v96 :: v_dual_mul_f32 v105, v17, v60
	s_waitcnt vmcnt(0)
	v_dual_mov_b32 v84, v49 :: v_dual_mul_f32 v111, v92, v72
	v_dual_mov_b32 v86, v50 :: v_dual_fmac_f32 v97, v0, v30
	v_dual_mul_f32 v102, v11, v41 :: v_dual_fmac_f32 v109, v24, v67
	v_mul_f32_e32 v41, v10, v41
	v_lshlrev_b64 v[49:50], 3, v[75:76]
	v_add_co_u32 v44, vcc_lo, s8, v47
	v_dual_mov_b32 v88, v51 :: v_dual_fmac_f32 v99, v4, v34
	v_dual_mov_b32 v90, v52 :: v_dual_fmac_f32 v111, v91, v71
	v_lshlrev_b64 v[51:52], 3, v[77:78]
	v_add_co_ci_u32_e32 v95, vcc_lo, s9, v48, vcc_lo
	v_dual_mov_b32 v94, v53 :: v_dual_fmac_f32 v101, v8, v38
	v_lshlrev_b64 v[53:54], 3, v[79:80]
	v_add_co_u32 v49, vcc_lo, v44, v49
	s_delay_alu instid0(VALU_DEP_4)
	v_add_co_ci_u32_e32 v50, vcc_lo, v95, v50, vcc_lo
	v_add_co_u32 v51, vcc_lo, v44, v51
	v_add_co_ci_u32_e32 v52, vcc_lo, v95, v52, vcc_lo
	v_lshlrev_b64 v[55:56], 3, v[81:82]
	v_add_co_u32 v53, vcc_lo, v44, v53
	v_add_co_ci_u32_e32 v54, vcc_lo, v95, v54, vcc_lo
	v_add_co_u32 v81, vcc_lo, v49, s4
	v_add_co_ci_u32_e32 v82, vcc_lo, s5, v50, vcc_lo
	v_lshlrev_b64 v[73:74], 3, v[83:84]
	v_add_co_u32 v55, vcc_lo, v44, v55
	;; [unrolled: 5-line block ×6, first 2 shown]
	v_add_co_ci_u32_e32 v80, vcc_lo, v95, v80, vcc_lo
	v_add_co_u32 v93, vcc_lo, v89, s4
	v_add_co_ci_u32_e32 v94, vcc_lo, s5, v90, vcc_lo
	v_add_co_u32 v47, vcc_lo, v44, v47
	v_dual_mul_f32 v44, v58, v29 :: v_dual_fmac_f32 v103, v12, v42
	v_mul_f32_e32 v29, v57, v29
	v_mul_f32_e32 v31, v0, v31
	s_delay_alu instid0(VALU_DEP_3) | instskip(SKIP_1) | instid1(VALU_DEP_4)
	v_dual_fmac_f32 v105, v16, v59 :: v_dual_fmac_f32 v44, v57, v28
	v_fmac_f32_e32 v98, v2, v32
	v_fma_f32 v28, v28, v58, -v29
	s_delay_alu instid0(VALU_DEP_4)
	v_fma_f32 v29, v30, v1, -v31
	v_fma_f32 v30, v32, v3, -v33
	;; [unrolled: 1-line block ×3, first 2 shown]
	v_mul_f32_e32 v106, v19, v62
	v_fma_f32 v32, v36, v7, -v37
	v_mul_f32_e32 v62, v18, v62
	v_dual_mul_f32 v104, v15, v46 :: v_dual_mul_f32 v1, 0x3c000000, v28
	v_dual_mul_f32 v46, v14, v46 :: v_dual_mul_f32 v3, 0x3c000000, v29
	;; [unrolled: 1-line block ×3, first 2 shown]
	v_fma_f32 v33, v38, v9, -v39
	v_mul_f32_e32 v64, v20, v64
	v_mul_f32_e32 v9, 0x3c000000, v32
	v_fma_f32 v38, v61, v19, -v62
	v_mul_f32_e32 v72, v91, v72
	v_fma_f32 v34, v40, v11, -v41
	;; [unrolled: 2-line block ×4, first 2 shown]
	v_dual_mul_f32 v110, v27, v70 :: v_dual_mul_f32 v11, 0x3c000000, v33
	v_fma_f32 v39, v63, v21, -v64
	v_mul_f32_e32 v70, v26, v70
	v_mul_f32_e32 v21, 0x3c000000, v38
	v_fma_f32 v43, v71, v92, -v72
	v_fmac_f32_e32 v100, v6, v36
	v_fma_f32 v36, v45, v15, -v46
	v_mul_f32_e32 v66, v22, v66
	v_mul_f32_e32 v13, 0x3c000000, v34
	v_fma_f32 v41, v67, v25, -v68
	v_fmac_f32_e32 v102, v10, v40
	v_mul_f32_e32 v17, 0x3c000000, v36
	v_fma_f32 v40, v65, v23, -v66
	v_mul_f32_e32 v23, 0x3c000000, v39
	v_fma_f32 v42, v69, v27, -v70
	v_dual_fmac_f32 v104, v14, v45 :: v_dual_mul_f32 v7, 0x3c000000, v31
	s_delay_alu instid0(VALU_DEP_4)
	v_dual_mul_f32 v25, 0x3c000000, v40 :: v_dual_fmac_f32 v106, v18, v61
	v_dual_mul_f32 v15, 0x3c000000, v35 :: v_dual_fmac_f32 v108, v22, v65
	v_mul_f32_e32 v19, 0x3c000000, v37
	v_fmac_f32_e32 v110, v26, v69
	v_dual_mul_f32 v27, 0x3c000000, v41 :: v_dual_mul_f32 v0, 0x3c000000, v44
	v_mul_f32_e32 v2, 0x3c000000, v97
	v_add_co_ci_u32_e32 v48, vcc_lo, v95, v48, vcc_lo
	v_mul_f32_e32 v29, 0x3c000000, v42
	v_mul_f32_e32 v4, 0x3c000000, v98
	v_add_co_u32 v95, vcc_lo, v93, s4
	v_mul_f32_e32 v6, 0x3c000000, v99
	v_dual_mul_f32 v31, 0x3c000000, v43 :: v_dual_mul_f32 v8, 0x3c000000, v100
	v_add_co_ci_u32_e32 v96, vcc_lo, s5, v94, vcc_lo
	v_mul_f32_e32 v10, 0x3c000000, v101
	v_mul_f32_e32 v12, 0x3c000000, v102
	;; [unrolled: 1-line block ×11, first 2 shown]
	s_clause 0x9
	global_store_b64 v[49:50], v[0:1], off
	global_store_b64 v[51:52], v[2:3], off
	;; [unrolled: 1-line block ×16, first 2 shown]
.LBB0_15:
	s_nop 0
	s_sendmsg sendmsg(MSG_DEALLOC_VGPRS)
	s_endpgm
	.section	.rodata,"a",@progbits
	.p2align	6, 0x0
	.amdhsa_kernel bluestein_single_back_len128_dim1_sp_op_CI_CI
		.amdhsa_group_segment_fixed_size 16384
		.amdhsa_private_segment_fixed_size 0
		.amdhsa_kernarg_size 104
		.amdhsa_user_sgpr_count 15
		.amdhsa_user_sgpr_dispatch_ptr 0
		.amdhsa_user_sgpr_queue_ptr 0
		.amdhsa_user_sgpr_kernarg_segment_ptr 1
		.amdhsa_user_sgpr_dispatch_id 0
		.amdhsa_user_sgpr_private_segment_size 0
		.amdhsa_wavefront_size32 1
		.amdhsa_uses_dynamic_stack 0
		.amdhsa_enable_private_segment 0
		.amdhsa_system_sgpr_workgroup_id_x 1
		.amdhsa_system_sgpr_workgroup_id_y 0
		.amdhsa_system_sgpr_workgroup_id_z 0
		.amdhsa_system_sgpr_workgroup_info 0
		.amdhsa_system_vgpr_workitem_id 0
		.amdhsa_next_free_vgpr 136
		.amdhsa_next_free_sgpr 16
		.amdhsa_reserve_vcc 1
		.amdhsa_float_round_mode_32 0
		.amdhsa_float_round_mode_16_64 0
		.amdhsa_float_denorm_mode_32 3
		.amdhsa_float_denorm_mode_16_64 3
		.amdhsa_dx10_clamp 1
		.amdhsa_ieee_mode 1
		.amdhsa_fp16_overflow 0
		.amdhsa_workgroup_processor_mode 1
		.amdhsa_memory_ordered 1
		.amdhsa_forward_progress 0
		.amdhsa_shared_vgpr_count 0
		.amdhsa_exception_fp_ieee_invalid_op 0
		.amdhsa_exception_fp_denorm_src 0
		.amdhsa_exception_fp_ieee_div_zero 0
		.amdhsa_exception_fp_ieee_overflow 0
		.amdhsa_exception_fp_ieee_underflow 0
		.amdhsa_exception_fp_ieee_inexact 0
		.amdhsa_exception_int_div_zero 0
	.end_amdhsa_kernel
	.text
.Lfunc_end0:
	.size	bluestein_single_back_len128_dim1_sp_op_CI_CI, .Lfunc_end0-bluestein_single_back_len128_dim1_sp_op_CI_CI
                                        ; -- End function
	.section	.AMDGPU.csdata,"",@progbits
; Kernel info:
; codeLenInByte = 7540
; NumSgprs: 18
; NumVgprs: 136
; ScratchSize: 0
; MemoryBound: 0
; FloatMode: 240
; IeeeMode: 1
; LDSByteSize: 16384 bytes/workgroup (compile time only)
; SGPRBlocks: 2
; VGPRBlocks: 16
; NumSGPRsForWavesPerEU: 18
; NumVGPRsForWavesPerEU: 136
; Occupancy: 10
; WaveLimiterHint : 1
; COMPUTE_PGM_RSRC2:SCRATCH_EN: 0
; COMPUTE_PGM_RSRC2:USER_SGPR: 15
; COMPUTE_PGM_RSRC2:TRAP_HANDLER: 0
; COMPUTE_PGM_RSRC2:TGID_X_EN: 1
; COMPUTE_PGM_RSRC2:TGID_Y_EN: 0
; COMPUTE_PGM_RSRC2:TGID_Z_EN: 0
; COMPUTE_PGM_RSRC2:TIDIG_COMP_CNT: 0
	.text
	.p2alignl 7, 3214868480
	.fill 96, 4, 3214868480
	.type	__hip_cuid_12cedd496ced53ce,@object ; @__hip_cuid_12cedd496ced53ce
	.section	.bss,"aw",@nobits
	.globl	__hip_cuid_12cedd496ced53ce
__hip_cuid_12cedd496ced53ce:
	.byte	0                               ; 0x0
	.size	__hip_cuid_12cedd496ced53ce, 1

	.ident	"AMD clang version 19.0.0git (https://github.com/RadeonOpenCompute/llvm-project roc-6.4.0 25133 c7fe45cf4b819c5991fe208aaa96edf142730f1d)"
	.section	".note.GNU-stack","",@progbits
	.addrsig
	.addrsig_sym __hip_cuid_12cedd496ced53ce
	.amdgpu_metadata
---
amdhsa.kernels:
  - .args:
      - .actual_access:  read_only
        .address_space:  global
        .offset:         0
        .size:           8
        .value_kind:     global_buffer
      - .actual_access:  read_only
        .address_space:  global
        .offset:         8
        .size:           8
        .value_kind:     global_buffer
      - .actual_access:  read_only
        .address_space:  global
        .offset:         16
        .size:           8
        .value_kind:     global_buffer
      - .actual_access:  read_only
        .address_space:  global
        .offset:         24
        .size:           8
        .value_kind:     global_buffer
      - .actual_access:  read_only
        .address_space:  global
        .offset:         32
        .size:           8
        .value_kind:     global_buffer
      - .offset:         40
        .size:           8
        .value_kind:     by_value
      - .address_space:  global
        .offset:         48
        .size:           8
        .value_kind:     global_buffer
      - .address_space:  global
        .offset:         56
        .size:           8
        .value_kind:     global_buffer
      - .address_space:  global
        .offset:         64
        .size:           8
        .value_kind:     global_buffer
      - .address_space:  global
        .offset:         72
        .size:           8
        .value_kind:     global_buffer
      - .offset:         80
        .size:           4
        .value_kind:     by_value
      - .address_space:  global
        .offset:         88
        .size:           8
        .value_kind:     global_buffer
      - .address_space:  global
        .offset:         96
        .size:           8
        .value_kind:     global_buffer
    .group_segment_fixed_size: 16384
    .kernarg_segment_align: 8
    .kernarg_segment_size: 104
    .language:       OpenCL C
    .language_version:
      - 2
      - 0
    .max_flat_workgroup_size: 256
    .name:           bluestein_single_back_len128_dim1_sp_op_CI_CI
    .private_segment_fixed_size: 0
    .sgpr_count:     18
    .sgpr_spill_count: 0
    .symbol:         bluestein_single_back_len128_dim1_sp_op_CI_CI.kd
    .uniform_work_group_size: 1
    .uses_dynamic_stack: false
    .vgpr_count:     136
    .vgpr_spill_count: 0
    .wavefront_size: 32
    .workgroup_processor_mode: 1
amdhsa.target:   amdgcn-amd-amdhsa--gfx1100
amdhsa.version:
  - 1
  - 2
...

	.end_amdgpu_metadata
